;; amdgpu-corpus repo=linkedin/Liger-Kernel kind=triton arch=gfx950 opt=O3 lang=triton
	.amdgcn_target "amdgcn-amd-amdhsa--gfx950"
	.amdhsa_code_object_version 5
	.text
	.globl	_group_norm_backward_kernel     ; -- Begin function _group_norm_backward_kernel
	.p2align	8
	.type	_group_norm_backward_kernel,@function
_group_norm_backward_kernel:            ; @_group_norm_backward_kernel
.Lfunc_begin0:
	.cfi_sections .debug_frame
	.cfi_startproc
; %bb.35:
	.file	1 "/root/src/amdgpu-assembly/repos/linkedin__Liger-Kernel/triton_aot_kernels" "group_norm_aot.py"
	.loc	1 81 0 prologue_end             ; group_norm_aot.py:81:0
	s_load_dwordx2 s[2:3], s[0:1], 0x0
	s_load_dwordx8 s[4:11], s[0:1], 0x8
	s_load_dwordx4 s[12:15], s[0:1], 0x28
	s_waitcnt lgkmcnt(0)
	s_branch .LBB0_0
	.loc	1 0 0 is_stmt 0                 ; :0:0
.Ltmp0:
	.p2align	8
; %bb.36:
.LBB0_0:
.Ltmp1:
	.loc	1 128 41 is_stmt 1              ; group_norm_aot.py:128:41
	s_lshl_b32 s24, s17, 2
	s_mov_b32 s18, s5
	.loc	1 128 61 is_stmt 0              ; group_norm_aot.py:128:61
	s_cmp_eq_u32 s24, 0x7ffffffc
	.loc	1 157 44 is_stmt 1              ; group_norm_aot.py:157:44
	v_readfirstlane_b32 s5, v0
	.loc	1 128 61                        ; group_norm_aot.py:128:61
	s_cbranch_scc1 .LBB0_34
; %bb.1:                                ; %.lr.ph
	.loc	1 0 61 is_stmt 0                ; group_norm_aot.py:0:61
	s_load_dwordx4 s[20:23], s[0:1], 0x38
	s_load_dwordx2 s[28:29], s[0:1], 0x48
	.loc	1 115 25 is_stmt 1              ; group_norm_aot.py:115:25
	s_mul_i32 s0, s4, s16
	.loc	1 115 13 is_stmt 0              ; group_norm_aot.py:115:13
	s_ashr_i32 s1, s0, 31
	s_lshl_b64 s[26:27], s[0:1], 2
	s_add_u32 s41, s2, s26
	s_addc_u32 s42, s3, s27
	.loc	1 117 20 is_stmt 1              ; group_norm_aot.py:117:20
	s_waitcnt lgkmcnt(0)
	s_add_u32 s39, s28, s26
	.loc	1 120 42                        ; group_norm_aot.py:120:42
	s_mul_i32 s0, s10, s16
	.loc	1 117 20                        ; group_norm_aot.py:117:20
	s_addc_u32 s40, s29, s27
	.loc	1 120 30                        ; group_norm_aot.py:120:30
	s_ashr_i32 s1, s0, 31
	s_lshl_b64 s[0:1], s[0:1], 2
	s_add_u32 s4, s8, s0
	.loc	1 120 76 is_stmt 0              ; group_norm_aot.py:120:76
	s_mul_i32 s2, s11, s17
	.loc	1 120 30                        ; group_norm_aot.py:120:30
	s_addc_u32 s9, s9, s1
	.loc	1 120 64                        ; group_norm_aot.py:120:64
	s_ashr_i32 s3, s2, 31
	s_lshl_b64 s[2:3], s[2:3], 2
	s_add_u32 s8, s4, s2
	s_addc_u32 s9, s9, s3
	.loc	1 121 30 is_stmt 1              ; group_norm_aot.py:121:30
	s_add_u32 s0, s12, s0
	s_addc_u32 s1, s13, s1
	.loc	1 121 64 is_stmt 0              ; group_norm_aot.py:121:64
	s_add_u32 s0, s0, s2
	s_addc_u32 s1, s1, s3
	.loc	1 121 19                        ; group_norm_aot.py:121:19
	s_load_dword s33, s[0:1], 0x0
	.loc	1 125 31 is_stmt 1              ; group_norm_aot.py:125:31
	v_and_b32_e32 v1, 63, v0
	s_and_b32 s0, s5, 0xc0
	v_or_b32_e32 v2, s0, v1
	s_lshr_b32 s0, s5, 4
	s_and_b32 s0, s0, 12
	s_add_i32 s43, s0, 0
	v_cmp_gt_u32_e64 s[0:1], 4, v0
	v_lshl_add_u32 v3, v0, 2, 0
	v_and_b32_e32 v0, 3, v0
	v_cmp_eq_u32_e64 s[2:3], 0, v0
	.loc	1 128 61                        ; group_norm_aot.py:128:61
	s_mul_i32 s17, s17, s18
	s_ashr_i32 s25, s24, 31
	.loc	1 128 79 is_stmt 0              ; group_norm_aot.py:128:79
	s_add_i32 s19, s24, 4
	.loc	1 183 80 is_stmt 1              ; group_norm_aot.py:183:80
	s_lshr_b32 s4, s5, 6
	s_and_b64 s[12:13], s[0:1], s[2:3]
	.loc	1 128 61                        ; group_norm_aot.py:128:61
	s_lshl_b32 s28, s17, 2
	s_lshl_b64 s[16:17], s[24:25], 2
	s_add_u32 s20, s20, s16
	.loc	1 120 19                        ; group_norm_aot.py:120:19
	s_load_dword s38, s[8:9], 0x0
	.loc	1 128 61                        ; group_norm_aot.py:128:61
	s_addc_u32 s21, s21, s17
	s_add_u32 s22, s22, s16
	s_addc_u32 s23, s23, s17
	.loc	1 125 31                        ; group_norm_aot.py:125:31
	v_lshlrev_b32_e32 v6, 2, v2
	v_or_b32_e32 v0, s4, v1
	.loc	1 128 61                        ; group_norm_aot.py:128:61
	s_add_u32 s30, s6, s16
	v_or_b32_e32 v7, 0x400, v6
	v_or_b32_e32 v8, 0x800, v6
	;; [unrolled: 1-line block ×3, first 2 shown]
	v_cmp_eq_u32_e32 vcc, 0, v1
	v_cmp_eq_u32_e64 s[2:3], 0, v0
	s_addc_u32 s31, s7, s17
	v_mov_b32_e32 v0, 0
	v_mov_b32_e32 v1, 0
	s_mov_b32 s11, 0x27000
	s_mov_b32 s10, 0x7ffffffe
	v_mov_b32_e32 v4, 0
	v_mov_b32_e32 v2, 0
	s_mov_b32 s25, s24
	s_branch .LBB0_3
.LBB0_2:                                ; %Flow11
                                        ;   in Loop: Header=BB0_3 Depth=1
	.loc	1 0 61 is_stmt 0                ; group_norm_aot.py:0:61
	s_or_b64 exec, exec, s[8:9]
	.loc	1 128 61 is_stmt 1              ; group_norm_aot.py:128:61
	s_add_i32 s25, s25, 1
	s_add_i32 s28, s28, s18
	s_add_u32 s20, s20, 4
	s_addc_u32 s21, s21, 0
	s_add_u32 s22, s22, 4
	s_addc_u32 s23, s23, 0
	;; [unrolled: 2-line block ×3, first 2 shown]
	.loc	1 153 18                        ; group_norm_aot.py:153:18
	s_waitcnt lgkmcnt(0)
	v_add_f32_e32 v1, v1, v12
	.loc	1 128 61                        ; group_norm_aot.py:128:61
	s_cmp_lt_i32 s25, s19
	.loc	1 152 18                        ; group_norm_aot.py:152:18
	v_add_f32_e32 v2, v2, v11
	.loc	1 128 61                        ; group_norm_aot.py:128:61
	s_cbranch_scc0 .LBB0_32
.LBB0_3:                                ; =>This Inner Loop Header: Depth=1
	.loc	1 137 24                        ; group_norm_aot.py:137:24
	s_ashr_i32 s29, s28, 31
	s_lshl_b64 s[4:5], s[28:29], 2
	s_add_u32 s8, s41, s4
	s_addc_u32 s9, s42, s5
	.loc	1 137 16 is_stmt 0              ; group_norm_aot.py:137:16
	s_and_b32 s9, s9, 0xffff
	buffer_load_dword v5, v6, s[8:11], 0 offen
	buffer_load_dword v10, v7, s[8:11], 0 offen
	;; [unrolled: 1-line block ×4, first 2 shown]
	.loc	1 142 31 is_stmt 1              ; group_norm_aot.py:142:31
	s_add_u32 s8, s39, s4
	s_addc_u32 s4, s40, s5
	.loc	1 142 16 is_stmt 0              ; group_norm_aot.py:142:16
	s_and_b32 s9, s4, 0xffff
	buffer_load_dword v11, v6, s[8:11], 0 offen
	buffer_load_dword v12, v7, s[8:11], 0 offen
	;; [unrolled: 1-line block ×4, first 2 shown]
	.loc	1 132 20 is_stmt 1              ; group_norm_aot.py:132:20
	global_load_dword v15, v0, s[30:31]
                                        ; kill: killed $sgpr8_sgpr9
.Ltmp2:
	.file	2 "/root/.local/lib/python3.13/site-packages/triton/language" "standard.py"
	.loc	2 293 36                        ; standard.py:293:36 @[ group_norm_aot.py:148:25 ]
	s_waitcnt lgkmcnt(0)
	s_barrier
.Ltmp3:
	.loc	1 147 25                        ; group_norm_aot.py:147:25
	s_waitcnt vmcnt(8)
	v_subrev_f32_e32 v5, s38, v5
	s_waitcnt vmcnt(7)
	v_subrev_f32_e32 v10, s38, v10
	.loc	1 147 33 is_stmt 0              ; group_norm_aot.py:147:33
	v_mul_f32_e32 v19, s33, v5
	.loc	1 147 25                        ; group_norm_aot.py:147:25
	s_waitcnt vmcnt(6)
	v_subrev_f32_e32 v16, s38, v16
	.loc	1 147 33                        ; group_norm_aot.py:147:33
	v_mul_f32_e32 v18, s33, v10
.Ltmp4:
	.loc	2 263 15 is_stmt 1              ; standard.py:263:15 @[ standard.py:293:36 @[ group_norm_aot.py:148:25 ] ]
	s_waitcnt vmcnt(4)
	v_mul_f32_e32 v5, v19, v11
.Ltmp5:
	.loc	1 147 25                        ; group_norm_aot.py:147:25
	v_subrev_f32_e32 v20, s38, v17
	.loc	1 147 33 is_stmt 0              ; group_norm_aot.py:147:33
	v_mul_f32_e32 v17, s33, v16
.Ltmp6:
	.loc	2 263 15 is_stmt 1              ; standard.py:263:15 @[ standard.py:293:36 @[ group_norm_aot.py:148:25 ] ]
	s_waitcnt vmcnt(3)
	v_fmac_f32_e32 v5, v18, v12
.Ltmp7:
	.loc	1 147 33                        ; group_norm_aot.py:147:33
	v_mul_f32_e32 v16, s33, v20
.Ltmp8:
	.loc	2 263 15                        ; standard.py:263:15 @[ standard.py:293:36 @[ group_norm_aot.py:148:25 ] ]
	s_waitcnt vmcnt(2)
	v_fmac_f32_e32 v5, v17, v13
	s_waitcnt vmcnt(1)
	v_fmac_f32_e32 v5, v16, v14
	s_nop 1
	v_add_f32_dpp v5, v5, v5 row_shr:8 row_mask:0xf bank_mask:0xf bound_ctrl:1
	s_nop 1
	v_add_f32_dpp v5, v5, v5 row_shr:4 row_mask:0xf bank_mask:0xf bound_ctrl:1
	;; [unrolled: 2-line block ×4, first 2 shown]
.Ltmp9:
	.loc	2 293 36                        ; standard.py:293:36 @[ group_norm_aot.py:148:25 ]
	v_mov_b32_e32 v10, v5
	s_nop 1
	v_mov_b32_dpp v10, v10 row_bcast:15 row_mask:0xa bank_mask:0xf bound_ctrl:1
.Ltmp10:
	.loc	2 263 15                        ; standard.py:263:15 @[ standard.py:293:36 @[ group_norm_aot.py:148:25 ] ]
	v_add_f32_e32 v5, v10, v5
	s_nop 1
	v_add_f32_dpp v5, v5, v5 row_bcast:31 row_mask:0xf bank_mask:0xf bound_ctrl:1
.Ltmp11:
	.loc	2 293 36                        ; standard.py:293:36 @[ group_norm_aot.py:148:25 ]
	s_nop 0
	v_readlane_b32 s8, v5, 63
	s_and_saveexec_b64 s[4:5], vcc
; %bb.4:                                ;   in Loop: Header=BB0_3 Depth=1
	v_mov_b32_e32 v5, s43
	v_mov_b32_e32 v10, s8
	ds_write_b32 v5, v10
.Ltmp12:
; %bb.5:                                ;   in Loop: Header=BB0_3 Depth=1
	.loc	2 0 36 is_stmt 0                ; standard.py:0:36
	s_or_b64 exec, exec, s[4:5]
	.loc	1 148 25 is_stmt 1              ; group_norm_aot.py:148:25
	v_mov_b32_e32 v5, 0
.Ltmp13:
	.loc	2 293 36                        ; standard.py:293:36 @[ group_norm_aot.py:148:25 ]
	s_waitcnt lgkmcnt(0)
	s_barrier
	s_and_saveexec_b64 s[4:5], s[0:1]
; %bb.6:                                ;   in Loop: Header=BB0_3 Depth=1
	ds_read_b32 v5, v3
; %bb.7:                                ;   in Loop: Header=BB0_3 Depth=1
	.loc	2 0 36 is_stmt 0                ; standard.py:0:36
	s_or_b64 exec, exec, s[4:5]
	.loc	2 293 36                        ; standard.py:293:36 @[ group_norm_aot.py:148:25 ]
	s_waitcnt lgkmcnt(0)
	v_mov_b32_e32 v10, v5
	s_nop 1
	v_mov_b32_dpp v10, v10 quad_perm:[2,3,0,1] row_mask:0xf bank_mask:0xf
.Ltmp14:
	.loc	2 263 15 is_stmt 1              ; standard.py:263:15 @[ standard.py:293:36 @[ group_norm_aot.py:148:25 ] ]
	v_add_f32_e32 v5, v5, v10
.Ltmp15:
	.loc	2 293 36                        ; standard.py:293:36 @[ group_norm_aot.py:148:25 ]
	v_mov_b32_e32 v10, v5
	s_nop 1
	v_mov_b32_dpp v10, v10 quad_perm:[1,0,3,2] row_mask:0xf bank_mask:0xf
	s_and_saveexec_b64 s[4:5], s[12:13]
; %bb.8:                                ;   in Loop: Header=BB0_3 Depth=1
	.loc	2 0 36 is_stmt 0                ; standard.py:0:36
	v_add_f32_e32 v5, v5, v10
	.loc	2 293 36                        ; standard.py:293:36 @[ group_norm_aot.py:148:25 ]
	ds_write_b32 v3, v5
.Ltmp16:
; %bb.9:                                ;   in Loop: Header=BB0_3 Depth=1
	.loc	2 0 36                          ; standard.py:0:36
	s_or_b64 exec, exec, s[4:5]
.Ltmp17:
	.loc	2 263 15 is_stmt 1              ; standard.py:263:15 @[ standard.py:293:36 @[ group_norm_aot.py:149:25 ] ]
	v_add_f32_e32 v10, v11, v12
	v_add_f32_e32 v10, v10, v13
	;; [unrolled: 1-line block ×3, first 2 shown]
.Ltmp18:
	.loc	2 293 36                        ; standard.py:293:36 @[ group_norm_aot.py:148:25 ]
	s_waitcnt lgkmcnt(0)
	s_barrier
.Ltmp19:
	.loc	2 263 15                        ; standard.py:263:15 @[ standard.py:293:36 @[ group_norm_aot.py:149:25 ] ]
	v_add_f32_dpp v10, v10, v10 row_shr:8 row_mask:0xf bank_mask:0xf bound_ctrl:1
.Ltmp20:
	.loc	2 293 36                        ; standard.py:293:36 @[ group_norm_aot.py:148:25 ]
	ds_read_b32 v5, v4
.Ltmp21:
	.loc	2 293 36 is_stmt 0              ; standard.py:293:36 @[ group_norm_aot.py:149:25 ]
	s_waitcnt lgkmcnt(0)
.Ltmp22:
	.loc	2 263 15 is_stmt 1              ; standard.py:263:15 @[ standard.py:293:36 @[ group_norm_aot.py:149:25 ] ]
	v_add_f32_dpp v10, v10, v10 row_shr:4 row_mask:0xf bank_mask:0xf bound_ctrl:1
.Ltmp23:
	.loc	2 293 36                        ; standard.py:293:36 @[ group_norm_aot.py:149:25 ]
	s_barrier
.Ltmp24:
	.loc	2 263 15                        ; standard.py:263:15 @[ standard.py:293:36 @[ group_norm_aot.py:149:25 ] ]
	s_nop 0
	v_add_f32_dpp v10, v10, v10 row_shr:2 row_mask:0xf bank_mask:0xf bound_ctrl:1
	s_nop 1
	v_add_f32_dpp v10, v10, v10 row_shr:1 row_mask:0xf bank_mask:0xf bound_ctrl:1
.Ltmp25:
	.loc	2 293 36                        ; standard.py:293:36 @[ group_norm_aot.py:149:25 ]
	v_mov_b32_e32 v20, v10
	s_nop 1
	v_mov_b32_dpp v20, v20 row_bcast:15 row_mask:0xa bank_mask:0xf bound_ctrl:1
.Ltmp26:
	.loc	2 263 15                        ; standard.py:263:15 @[ standard.py:293:36 @[ group_norm_aot.py:149:25 ] ]
	v_add_f32_e32 v10, v10, v20
	s_nop 1
	v_add_f32_dpp v10, v10, v10 row_bcast:31 row_mask:0xf bank_mask:0xf bound_ctrl:1
.Ltmp27:
	.loc	2 293 36                        ; standard.py:293:36 @[ group_norm_aot.py:149:25 ]
	s_nop 0
	v_readlane_b32 s8, v10, 63
	s_and_saveexec_b64 s[4:5], vcc
; %bb.10:                               ;   in Loop: Header=BB0_3 Depth=1
	v_mov_b32_e32 v10, s43
	v_mov_b32_e32 v20, s8
	ds_write_b32 v10, v20
.Ltmp28:
; %bb.11:                               ;   in Loop: Header=BB0_3 Depth=1
	.loc	2 0 36 is_stmt 0                ; standard.py:0:36
	s_or_b64 exec, exec, s[4:5]
	.loc	1 149 25 is_stmt 1              ; group_norm_aot.py:149:25
	v_mov_b32_e32 v10, 0
.Ltmp29:
	.loc	2 293 36                        ; standard.py:293:36 @[ group_norm_aot.py:149:25 ]
	s_waitcnt lgkmcnt(0)
	s_barrier
	s_and_saveexec_b64 s[4:5], s[0:1]
; %bb.12:                               ;   in Loop: Header=BB0_3 Depth=1
	ds_read_b32 v10, v3
; %bb.13:                               ;   in Loop: Header=BB0_3 Depth=1
	.loc	2 0 36 is_stmt 0                ; standard.py:0:36
	s_or_b64 exec, exec, s[4:5]
	.loc	2 293 36                        ; standard.py:293:36 @[ group_norm_aot.py:149:25 ]
	s_waitcnt lgkmcnt(0)
	v_mov_b32_e32 v20, v10
	s_nop 1
	v_mov_b32_dpp v20, v20 quad_perm:[2,3,0,1] row_mask:0xf bank_mask:0xf
.Ltmp30:
	.loc	2 263 15 is_stmt 1              ; standard.py:263:15 @[ standard.py:293:36 @[ group_norm_aot.py:149:25 ] ]
	v_add_f32_e32 v10, v10, v20
.Ltmp31:
	.loc	2 293 36                        ; standard.py:293:36 @[ group_norm_aot.py:149:25 ]
	v_mov_b32_e32 v20, v10
	s_nop 1
	v_mov_b32_dpp v20, v20 quad_perm:[1,0,3,2] row_mask:0xf bank_mask:0xf
	s_and_saveexec_b64 s[4:5], s[12:13]
; %bb.14:                               ;   in Loop: Header=BB0_3 Depth=1
	.loc	2 0 36 is_stmt 0                ; standard.py:0:36
	v_add_f32_e32 v10, v10, v20
	.loc	2 293 36                        ; standard.py:293:36 @[ group_norm_aot.py:149:25 ]
	ds_write_b32 v3, v10
.Ltmp32:
; %bb.15:                               ;   in Loop: Header=BB0_3 Depth=1
	.loc	2 0 36                          ; standard.py:0:36
	s_or_b64 exec, exec, s[4:5]
	.loc	1 151 22 is_stmt 1              ; group_norm_aot.py:151:22
	s_waitcnt vmcnt(0)
	v_mul_f32_e32 v20, v15, v11
	v_mul_f32_e32 v12, v15, v12
.Ltmp33:
	.loc	2 263 15                        ; standard.py:263:15 @[ standard.py:293:36 @[ group_norm_aot.py:152:25 ] ]
	v_mul_f32_e32 v11, v19, v20
.Ltmp34:
	.loc	1 151 22                        ; group_norm_aot.py:151:22
	v_mul_f32_e32 v13, v15, v13
.Ltmp35:
	.loc	2 263 15                        ; standard.py:263:15 @[ standard.py:293:36 @[ group_norm_aot.py:152:25 ] ]
	v_fmac_f32_e32 v11, v18, v12
.Ltmp36:
	.loc	1 151 22                        ; group_norm_aot.py:151:22
	v_mul_f32_e32 v14, v15, v14
.Ltmp37:
	.loc	2 263 15                        ; standard.py:263:15 @[ standard.py:293:36 @[ group_norm_aot.py:152:25 ] ]
	v_fmac_f32_e32 v11, v17, v13
	v_fmac_f32_e32 v11, v16, v14
.Ltmp38:
	.loc	2 293 36                        ; standard.py:293:36 @[ group_norm_aot.py:149:25 ]
	s_waitcnt lgkmcnt(0)
	s_barrier
.Ltmp39:
	.loc	2 263 15                        ; standard.py:263:15 @[ standard.py:293:36 @[ group_norm_aot.py:152:25 ] ]
	v_add_f32_dpp v11, v11, v11 row_shr:8 row_mask:0xf bank_mask:0xf bound_ctrl:1
.Ltmp40:
	.loc	2 293 36                        ; standard.py:293:36 @[ group_norm_aot.py:149:25 ]
	ds_read_b32 v10, v4
.Ltmp41:
	.loc	2 293 36 is_stmt 0              ; standard.py:293:36 @[ group_norm_aot.py:152:25 ]
	s_waitcnt lgkmcnt(0)
.Ltmp42:
	.loc	2 263 15 is_stmt 1              ; standard.py:263:15 @[ standard.py:293:36 @[ group_norm_aot.py:152:25 ] ]
	v_add_f32_dpp v11, v11, v11 row_shr:4 row_mask:0xf bank_mask:0xf bound_ctrl:1
.Ltmp43:
	.loc	2 293 36                        ; standard.py:293:36 @[ group_norm_aot.py:152:25 ]
	s_barrier
.Ltmp44:
	.loc	2 263 15                        ; standard.py:263:15 @[ standard.py:293:36 @[ group_norm_aot.py:152:25 ] ]
	s_nop 0
	v_add_f32_dpp v11, v11, v11 row_shr:2 row_mask:0xf bank_mask:0xf bound_ctrl:1
	s_nop 1
	v_add_f32_dpp v11, v11, v11 row_shr:1 row_mask:0xf bank_mask:0xf bound_ctrl:1
.Ltmp45:
	.loc	2 293 36                        ; standard.py:293:36 @[ group_norm_aot.py:152:25 ]
	v_mov_b32_e32 v15, v11
	s_nop 1
	v_mov_b32_dpp v15, v15 row_bcast:15 row_mask:0xa bank_mask:0xf bound_ctrl:1
.Ltmp46:
	.loc	2 263 15                        ; standard.py:263:15 @[ standard.py:293:36 @[ group_norm_aot.py:152:25 ] ]
	v_add_f32_e32 v11, v11, v15
	s_nop 1
	v_add_f32_dpp v11, v11, v11 row_bcast:31 row_mask:0xf bank_mask:0xf bound_ctrl:1
.Ltmp47:
	.loc	2 293 36                        ; standard.py:293:36 @[ group_norm_aot.py:152:25 ]
	s_nop 0
	v_readlane_b32 s8, v11, 63
	s_and_saveexec_b64 s[4:5], vcc
; %bb.16:                               ;   in Loop: Header=BB0_3 Depth=1
	v_mov_b32_e32 v11, s43
	v_mov_b32_e32 v15, s8
	ds_write_b32 v11, v15
.Ltmp48:
; %bb.17:                               ;   in Loop: Header=BB0_3 Depth=1
	.loc	2 0 36 is_stmt 0                ; standard.py:0:36
	s_or_b64 exec, exec, s[4:5]
	.loc	1 152 25 is_stmt 1              ; group_norm_aot.py:152:25
	v_mov_b32_e32 v11, 0
.Ltmp49:
	.loc	2 293 36                        ; standard.py:293:36 @[ group_norm_aot.py:152:25 ]
	s_waitcnt lgkmcnt(0)
	s_barrier
	s_and_saveexec_b64 s[4:5], s[0:1]
; %bb.18:                               ;   in Loop: Header=BB0_3 Depth=1
	ds_read_b32 v11, v3
; %bb.19:                               ;   in Loop: Header=BB0_3 Depth=1
	.loc	2 0 36 is_stmt 0                ; standard.py:0:36
	s_or_b64 exec, exec, s[4:5]
	.loc	2 293 36                        ; standard.py:293:36 @[ group_norm_aot.py:152:25 ]
	s_waitcnt lgkmcnt(0)
	v_mov_b32_e32 v15, v11
	s_nop 1
	v_mov_b32_dpp v15, v15 quad_perm:[2,3,0,1] row_mask:0xf bank_mask:0xf
.Ltmp50:
	.loc	2 263 15 is_stmt 1              ; standard.py:263:15 @[ standard.py:293:36 @[ group_norm_aot.py:152:25 ] ]
	v_add_f32_e32 v11, v11, v15
.Ltmp51:
	.loc	2 293 36                        ; standard.py:293:36 @[ group_norm_aot.py:152:25 ]
	v_mov_b32_e32 v15, v11
	s_nop 1
	v_mov_b32_dpp v15, v15 quad_perm:[1,0,3,2] row_mask:0xf bank_mask:0xf
	s_and_saveexec_b64 s[4:5], s[12:13]
; %bb.20:                               ;   in Loop: Header=BB0_3 Depth=1
	.loc	2 0 36 is_stmt 0                ; standard.py:0:36
	v_add_f32_e32 v11, v11, v15
	.loc	2 293 36                        ; standard.py:293:36 @[ group_norm_aot.py:152:25 ]
	ds_write_b32 v3, v11
.Ltmp52:
; %bb.21:                               ;   in Loop: Header=BB0_3 Depth=1
	.loc	2 0 36                          ; standard.py:0:36
	s_or_b64 exec, exec, s[4:5]
.Ltmp53:
	.loc	2 263 15 is_stmt 1              ; standard.py:263:15 @[ standard.py:293:36 @[ group_norm_aot.py:153:25 ] ]
	v_add_f32_e32 v12, v20, v12
	v_add_f32_e32 v12, v12, v13
	;; [unrolled: 1-line block ×3, first 2 shown]
.Ltmp54:
	.loc	2 293 36                        ; standard.py:293:36 @[ group_norm_aot.py:152:25 ]
	s_waitcnt lgkmcnt(0)
	s_barrier
.Ltmp55:
	.loc	2 263 15                        ; standard.py:263:15 @[ standard.py:293:36 @[ group_norm_aot.py:153:25 ] ]
	v_add_f32_dpp v12, v12, v12 row_shr:8 row_mask:0xf bank_mask:0xf bound_ctrl:1
.Ltmp56:
	.loc	2 293 36                        ; standard.py:293:36 @[ group_norm_aot.py:152:25 ]
	ds_read_b32 v11, v0
.Ltmp57:
	.loc	2 293 36 is_stmt 0              ; standard.py:293:36 @[ group_norm_aot.py:153:25 ]
	s_waitcnt lgkmcnt(0)
.Ltmp58:
	.loc	2 263 15 is_stmt 1              ; standard.py:263:15 @[ standard.py:293:36 @[ group_norm_aot.py:153:25 ] ]
	v_add_f32_dpp v12, v12, v12 row_shr:4 row_mask:0xf bank_mask:0xf bound_ctrl:1
.Ltmp59:
	.loc	2 293 36                        ; standard.py:293:36 @[ group_norm_aot.py:153:25 ]
	s_barrier
.Ltmp60:
	.loc	2 263 15                        ; standard.py:263:15 @[ standard.py:293:36 @[ group_norm_aot.py:153:25 ] ]
	s_nop 0
	v_add_f32_dpp v12, v12, v12 row_shr:2 row_mask:0xf bank_mask:0xf bound_ctrl:1
	s_nop 1
	v_add_f32_dpp v12, v12, v12 row_shr:1 row_mask:0xf bank_mask:0xf bound_ctrl:1
.Ltmp61:
	.loc	2 293 36                        ; standard.py:293:36 @[ group_norm_aot.py:153:25 ]
	v_mov_b32_e32 v13, v12
	s_nop 1
	v_mov_b32_dpp v13, v13 row_bcast:15 row_mask:0xa bank_mask:0xf bound_ctrl:1
.Ltmp62:
	.loc	2 263 15                        ; standard.py:263:15 @[ standard.py:293:36 @[ group_norm_aot.py:153:25 ] ]
	v_add_f32_e32 v12, v12, v13
	s_nop 1
	v_add_f32_dpp v12, v12, v12 row_bcast:31 row_mask:0xf bank_mask:0xf bound_ctrl:1
.Ltmp63:
	.loc	2 293 36                        ; standard.py:293:36 @[ group_norm_aot.py:153:25 ]
	s_nop 0
	v_readlane_b32 s8, v12, 63
	s_and_saveexec_b64 s[4:5], vcc
; %bb.22:                               ;   in Loop: Header=BB0_3 Depth=1
	v_mov_b32_e32 v12, s43
	v_mov_b32_e32 v13, s8
	ds_write_b32 v12, v13
.Ltmp64:
; %bb.23:                               ;   in Loop: Header=BB0_3 Depth=1
	.loc	2 0 36 is_stmt 0                ; standard.py:0:36
	s_or_b64 exec, exec, s[4:5]
	.loc	1 153 25 is_stmt 1              ; group_norm_aot.py:153:25
	v_mov_b32_e32 v12, 0
.Ltmp65:
	.loc	2 293 36                        ; standard.py:293:36 @[ group_norm_aot.py:153:25 ]
	s_waitcnt lgkmcnt(0)
	s_barrier
	s_and_saveexec_b64 s[4:5], s[0:1]
; %bb.24:                               ;   in Loop: Header=BB0_3 Depth=1
	ds_read_b32 v12, v3
; %bb.25:                               ;   in Loop: Header=BB0_3 Depth=1
	.loc	2 0 36 is_stmt 0                ; standard.py:0:36
	s_or_b64 exec, exec, s[4:5]
	.loc	2 293 36                        ; standard.py:293:36 @[ group_norm_aot.py:153:25 ]
	s_waitcnt lgkmcnt(0)
	v_mov_b32_e32 v13, v12
	s_nop 1
	v_mov_b32_dpp v13, v13 quad_perm:[2,3,0,1] row_mask:0xf bank_mask:0xf
.Ltmp66:
	.loc	2 263 15 is_stmt 1              ; standard.py:263:15 @[ standard.py:293:36 @[ group_norm_aot.py:153:25 ] ]
	v_add_f32_e32 v12, v12, v13
.Ltmp67:
	.loc	2 293 36                        ; standard.py:293:36 @[ group_norm_aot.py:153:25 ]
	v_mov_b32_e32 v13, v12
	s_nop 1
	v_mov_b32_dpp v13, v13 quad_perm:[1,0,3,2] row_mask:0xf bank_mask:0xf
	s_and_saveexec_b64 s[4:5], s[12:13]
; %bb.26:                               ;   in Loop: Header=BB0_3 Depth=1
	.loc	2 0 36 is_stmt 0                ; standard.py:0:36
	v_add_f32_e32 v12, v12, v13
	.loc	2 293 36                        ; standard.py:293:36 @[ group_norm_aot.py:153:25 ]
	ds_write_b32 v3, v12
; %bb.27:                               ;   in Loop: Header=BB0_3 Depth=1
	.loc	2 0 36                          ; standard.py:0:36
	s_or_b64 exec, exec, s[4:5]
	.loc	2 293 36                        ; standard.py:293:36 @[ group_norm_aot.py:153:25 ]
	s_waitcnt lgkmcnt(0)
	s_barrier
	ds_read_b32 v12, v0
.Ltmp68:
	.loc	1 156 31 is_stmt 1              ; group_norm_aot.py:156:31
	s_and_saveexec_b64 s[8:9], s[2:3]
	s_cbranch_execz .LBB0_2
; %bb.28:                               ;   in Loop: Header=BB0_3 Depth=1
	s_mov_b64 s[36:37], exec
	v_mbcnt_lo_u32_b32 v13, s36, 0
	v_mbcnt_hi_u32_b32 v13, s37, v13
	v_cmp_eq_u32_e64 s[4:5], 0, v13
	s_and_saveexec_b64 s[34:35], s[4:5]
	s_cbranch_execz .LBB0_30
; %bb.29:                               ;   in Loop: Header=BB0_3 Depth=1
	s_bcnt1_i32_b64 s4, s[36:37]
	.loc	1 148 18                        ; group_norm_aot.py:148:18
	v_add_f32_e32 v5, 0, v5
	.loc	1 156 31                        ; group_norm_aot.py:156:31
	v_cvt_f32_ubyte0_e32 v13, s4
	v_mul_f32_e32 v5, v5, v13
	buffer_wbl2 sc1
	s_waitcnt lgkmcnt(0)
	global_atomic_add_f32 v0, v5, s[20:21]
	s_waitcnt vmcnt(0)
	buffer_inv sc1
.LBB0_30:                               ;   in Loop: Header=BB0_3 Depth=1
	.loc	1 0 31 is_stmt 0                ; group_norm_aot.py:0:31
	s_or_b64 exec, exec, s[34:35]
	.loc	1 157 31 is_stmt 1              ; group_norm_aot.py:157:31
	s_mov_b64 s[34:35], exec
	v_mbcnt_lo_u32_b32 v5, s34, 0
	v_mbcnt_hi_u32_b32 v5, s35, v5
	v_cmp_eq_u32_e64 s[4:5], 0, v5
	s_and_b64 s[4:5], exec, s[4:5]
	s_mov_b64 exec, s[4:5]
	s_cbranch_execz .LBB0_2
; %bb.31:                               ;   in Loop: Header=BB0_3 Depth=1
	s_bcnt1_i32_b64 s4, s[34:35]
	.loc	1 149 18                        ; group_norm_aot.py:149:18
	v_add_f32_e32 v5, 0, v10
	.loc	1 157 31                        ; group_norm_aot.py:157:31
	v_cvt_f32_ubyte0_e32 v10, s4
	v_mul_f32_e32 v5, v5, v10
	buffer_wbl2 sc1
	s_waitcnt lgkmcnt(0)
	global_atomic_add_f32 v0, v5, s[22:23]
	s_waitcnt vmcnt(0)
	buffer_inv sc1
	s_branch .LBB0_2
.LBB0_32:                               ; %._crit_edge.loopexit
	.loc	1 116 14                        ; group_norm_aot.py:116:14
	s_add_u32 s20, s14, s26
	s_addc_u32 s21, s15, s27
	.loc	1 165 28                        ; group_norm_aot.py:165:28
	s_add_u32 s12, s6, s16
	.loc	1 170 38                        ; group_norm_aot.py:170:38
	s_mul_i32 s14, s24, s18
	.loc	1 165 28                        ; group_norm_aot.py:165:28
	s_addc_u32 s13, s7, s17
	.loc	1 170 24                        ; group_norm_aot.py:170:24
	s_ashr_i32 s15, s14, 31
	s_lshl_b64 s[8:9], s[14:15], 2
	s_add_u32 s0, s41, s8
	s_addc_u32 s16, s42, s9
	.loc	1 170 16 is_stmt 0              ; group_norm_aot.py:170:16
	s_and_b32 s1, s16, 0xffff
	s_mov_b32 s3, 0x27000
	s_mov_b32 s2, 0x7ffffffe
	.loc	1 175 31 is_stmt 1              ; group_norm_aot.py:175:31
	s_add_u32 s4, s39, s8
	.loc	1 165 28                        ; group_norm_aot.py:165:28
	v_mov_b32_e32 v10, 0
	.loc	1 170 16                        ; group_norm_aot.py:170:16
	buffer_load_dword v5, v6, s[0:3], 0 offen
	buffer_load_dword v11, v7, s[0:3], 0 offen
	;; [unrolled: 1-line block ×4, first 2 shown]
	.loc	1 175 31                        ; group_norm_aot.py:175:31
	s_addc_u32 s17, s40, s9
	.loc	1 165 20                        ; group_norm_aot.py:165:20
	global_load_dword v0, v10, s[12:13]
	.loc	1 175 16                        ; group_norm_aot.py:175:16
	s_and_b32 s5, s17, 0xffff
	s_mov_b32 s6, s2
	s_mov_b32 s7, s3
	buffer_load_dword v12, v6, s[4:7], 0 offen
	buffer_load_dword v14, v7, s[4:7], 0 offen
	;; [unrolled: 1-line block ×4, first 2 shown]
	.loc	1 160 14                        ; group_norm_aot.py:160:14
	v_mov_b32_e32 v3, s33
	s_mov_b32 s1, 0x39800000
	v_mov_b32_e32 v4, 0x39800000
	.loc	1 181 22                        ; group_norm_aot.py:181:22
	v_mov_b32_e32 v13, s1
	.loc	1 183 30                        ; group_norm_aot.py:183:30
	s_add_u32 s8, s20, s8
	s_addc_u32 s22, s21, s9
	.loc	1 163 64                        ; group_norm_aot.py:163:64
	s_or_b32 s1, s24, 1
	.loc	1 183 80                        ; group_norm_aot.py:183:80
	s_and_b32 s9, s22, 0xffff
	s_mov_b32 s10, s2
	s_mov_b32 s11, s3
	.loc	1 163 64                        ; group_norm_aot.py:163:64
	s_cmp_ge_i32 s1, s19
	.loc	1 180 25                        ; group_norm_aot.py:180:25
	s_waitcnt vmcnt(8)
	v_subrev_f32_e32 v5, s38, v5
	s_waitcnt vmcnt(7)
	v_subrev_f32_e32 v11, s38, v11
	;; [unrolled: 2-line block ×4, first 2 shown]
	.loc	1 160 14                        ; group_norm_aot.py:160:14
	v_pk_mul_f32 v[4:5], v[2:3], v[4:5]
	.loc	1 180 33                        ; group_norm_aot.py:180:33
	v_mul_f32_e32 v15, s33, v11
	v_mul_f32_e32 v17, s33, v19
	;; [unrolled: 1-line block ×3, first 2 shown]
	.loc	1 181 22                        ; group_norm_aot.py:181:22
	s_waitcnt vmcnt(3)
	v_pk_mul_f32 v[2:3], v[0:1], v[12:13]
	v_mov_b32_e32 v1, v4
	s_waitcnt vmcnt(2)
	v_pk_mul_f32 v[12:13], v[0:1], v[14:15]
	s_waitcnt vmcnt(1)
	v_pk_mul_f32 v[14:15], v[0:1], v[16:17]
	;; [unrolled: 2-line block ×3, first 2 shown]
	.loc	1 182 25                        ; group_norm_aot.py:182:25
	v_fma_f32 v5, v4, v5, v3
	v_sub_f32_e32 v2, v2, v5
	v_add_f32_e32 v5, v3, v13
	v_add_f32_e32 v11, v3, v15
	;; [unrolled: 1-line block ×3, first 2 shown]
	v_sub_f32_e32 v5, v12, v5
	v_sub_f32_e32 v11, v14, v11
	;; [unrolled: 1-line block ×3, first 2 shown]
	.loc	1 182 45 is_stmt 0              ; group_norm_aot.py:182:45
	v_mul_f32_e32 v1, s33, v2
	v_mul_f32_e32 v2, s33, v5
	;; [unrolled: 1-line block ×4, first 2 shown]
	.loc	1 183 80 is_stmt 1              ; group_norm_aot.py:183:80
	buffer_store_dword v1, v6, s[8:11], 0 offen
	buffer_store_dword v2, v7, s[8:11], 0 offen
	;; [unrolled: 1-line block ×4, first 2 shown]
	.loc	1 163 64                        ; group_norm_aot.py:163:64
	s_cbranch_scc1 .LBB0_34
; %bb.33:
	.loc	1 170 24                        ; group_norm_aot.py:170:24
	s_ashr_i32 s19, s18, 31
	.loc	1 170 38 is_stmt 0              ; group_norm_aot.py:170:38
	s_add_i32 s23, s14, s18
	.loc	1 170 24                        ; group_norm_aot.py:170:24
	s_lshl_b64 s[14:15], s[18:19], 2
	s_add_u32 s0, s0, s14
	s_addc_u32 s16, s16, s15
	.loc	1 170 16                        ; group_norm_aot.py:170:16
	s_and_b32 s1, s16, 0xffff
	.loc	1 175 31 is_stmt 1              ; group_norm_aot.py:175:31
	s_add_u32 s4, s4, s14
	.loc	1 170 16                        ; group_norm_aot.py:170:16
	buffer_load_dword v2, v6, s[0:3], 0 offen
	buffer_load_dword v5, v7, s[0:3], 0 offen
	;; [unrolled: 1-line block ×4, first 2 shown]
	.loc	1 175 31                        ; group_norm_aot.py:175:31
	s_addc_u32 s17, s17, s15
	.loc	1 165 20                        ; group_norm_aot.py:165:20
	global_load_dword v0, v10, s[12:13] offset:4
	.loc	1 175 16                        ; group_norm_aot.py:175:16
	s_and_b32 s5, s17, 0xffff
	s_mov_b32 s6, s2
	s_mov_b32 s7, s3
	buffer_load_dword v12, v6, s[4:7], 0 offen
	buffer_load_dword v14, v7, s[4:7], 0 offen
	;; [unrolled: 1-line block ×4, first 2 shown]
	.loc	1 181 22                        ; group_norm_aot.py:181:22
	v_mov_b32_e32 v1, v4
	.loc	1 183 30                        ; group_norm_aot.py:183:30
	s_add_u32 s8, s8, s14
	s_addc_u32 s5, s22, s15
	.loc	1 183 80 is_stmt 0              ; group_norm_aot.py:183:80
	s_and_b32 s9, s5, 0xffff
	.loc	1 170 24 is_stmt 1              ; group_norm_aot.py:170:24
	s_add_u32 s0, s0, s14
	.loc	1 183 80                        ; group_norm_aot.py:183:80
	s_mov_b32 s10, s2
	s_mov_b32 s11, s3
	.loc	1 170 24                        ; group_norm_aot.py:170:24
	s_addc_u32 s1, s16, s15
	.loc	1 170 16 is_stmt 0              ; group_norm_aot.py:170:16
	s_and_b32 s1, s1, 0xffff
                                        ; kill: killed $sgpr0_sgpr1
                                        ; kill: killed $vgpr10
                                        ; kill: killed $sgpr12 killed $sgpr13
	.loc	1 180 25 is_stmt 1              ; group_norm_aot.py:180:25
	s_waitcnt vmcnt(8)
	v_subrev_f32_e32 v2, s38, v2
	s_waitcnt vmcnt(7)
	v_subrev_f32_e32 v5, s38, v5
	s_waitcnt vmcnt(6)
	v_subrev_f32_e32 v11, s38, v11
	s_waitcnt vmcnt(5)
	v_subrev_f32_e32 v19, s38, v13
	.loc	1 180 33 is_stmt 0              ; group_norm_aot.py:180:33
	v_mul_f32_e32 v13, s33, v2
	v_mul_f32_e32 v15, s33, v5
	v_mul_f32_e32 v17, s33, v11
	v_mul_f32_e32 v19, s33, v19
	.loc	1 181 22 is_stmt 1              ; group_norm_aot.py:181:22
	s_waitcnt vmcnt(3)
	v_pk_mul_f32 v[12:13], v[0:1], v[12:13]
	s_waitcnt vmcnt(2)
	v_pk_mul_f32 v[14:15], v[0:1], v[14:15]
	;; [unrolled: 2-line block ×4, first 2 shown]
	.loc	1 182 25                        ; group_norm_aot.py:182:25
	v_add_f32_e32 v2, v3, v13
	v_add_f32_e32 v5, v3, v15
	;; [unrolled: 1-line block ×4, first 2 shown]
	v_sub_f32_e32 v2, v12, v2
	v_sub_f32_e32 v5, v14, v5
	;; [unrolled: 1-line block ×4, first 2 shown]
	.loc	1 182 45 is_stmt 0              ; group_norm_aot.py:182:45
	v_mul_f32_e32 v1, s33, v2
	v_mul_f32_e32 v2, s33, v5
	;; [unrolled: 1-line block ×4, first 2 shown]
	.loc	1 183 80 is_stmt 1              ; group_norm_aot.py:183:80
	buffer_store_dword v1, v6, s[8:11], 0 offen
	buffer_store_dword v2, v7, s[8:11], 0 offen
	;; [unrolled: 1-line block ×4, first 2 shown]
	.loc	1 170 16                        ; group_norm_aot.py:170:16
	buffer_load_dword v2, v6, s[0:3], 0 offen
	s_nop 0
	buffer_load_dword v5, v7, s[0:3], 0 offen
	buffer_load_dword v11, v8, s[0:3], 0 offen
	;; [unrolled: 1-line block ×3, first 2 shown]
	.loc	1 175 31                        ; group_norm_aot.py:175:31
	s_add_u32 s0, s4, s14
	s_addc_u32 s1, s17, s15
	.loc	1 165 20                        ; group_norm_aot.py:165:20
	global_load_dword v0, v10, s[12:13] offset:8
	.loc	1 175 16                        ; group_norm_aot.py:175:16
	s_and_b32 s1, s1, 0xffff
	buffer_load_dword v12, v6, s[0:3], 0 offen
	buffer_load_dword v14, v7, s[0:3], 0 offen
	;; [unrolled: 1-line block ×4, first 2 shown]
	.loc	1 181 22                        ; group_norm_aot.py:181:22
	v_mov_b32_e32 v1, v4
	.loc	1 183 30                        ; group_norm_aot.py:183:30
	s_add_u32 s0, s8, s14
	s_addc_u32 s1, s5, s15
	.loc	1 170 38                        ; group_norm_aot.py:170:38
	s_lshl1_add_u32 s4, s18, s23
	.loc	1 170 24 is_stmt 0              ; group_norm_aot.py:170:24
	s_ashr_i32 s5, s4, 31
	.loc	1 183 80 is_stmt 1              ; group_norm_aot.py:183:80
	s_and_b32 s1, s1, 0xffff
	.loc	1 170 24                        ; group_norm_aot.py:170:24
	s_lshl_b64 s[4:5], s[4:5], 2
	.loc	1 180 25                        ; group_norm_aot.py:180:25
	s_waitcnt vmcnt(8)
	v_subrev_f32_e32 v2, s38, v2
	s_waitcnt vmcnt(7)
	v_subrev_f32_e32 v5, s38, v5
	;; [unrolled: 2-line block ×4, first 2 shown]
	.loc	1 180 33 is_stmt 0              ; group_norm_aot.py:180:33
	v_mul_f32_e32 v13, s33, v2
	v_mul_f32_e32 v15, s33, v5
	;; [unrolled: 1-line block ×4, first 2 shown]
	.loc	1 181 22 is_stmt 1              ; group_norm_aot.py:181:22
	s_waitcnt vmcnt(3)
	v_pk_mul_f32 v[12:13], v[0:1], v[12:13]
	s_waitcnt vmcnt(2)
	v_pk_mul_f32 v[14:15], v[0:1], v[14:15]
	;; [unrolled: 2-line block ×4, first 2 shown]
	.loc	1 182 25                        ; group_norm_aot.py:182:25
	v_add_f32_e32 v2, v3, v13
	v_add_f32_e32 v5, v3, v15
	;; [unrolled: 1-line block ×4, first 2 shown]
	v_sub_f32_e32 v2, v12, v2
	v_sub_f32_e32 v5, v14, v5
	;; [unrolled: 1-line block ×4, first 2 shown]
	.loc	1 182 45 is_stmt 0              ; group_norm_aot.py:182:45
	v_mul_f32_e32 v1, s33, v2
	v_mul_f32_e32 v2, s33, v5
	;; [unrolled: 1-line block ×4, first 2 shown]
	.loc	1 183 80 is_stmt 1              ; group_norm_aot.py:183:80
	buffer_store_dword v1, v6, s[0:3], 0 offen
	buffer_store_dword v2, v7, s[0:3], 0 offen
	;; [unrolled: 1-line block ×4, first 2 shown]
	.loc	1 170 24                        ; group_norm_aot.py:170:24
	s_add_u32 s0, s41, s4
	s_addc_u32 s1, s42, s5
	.loc	1 170 16 is_stmt 0              ; group_norm_aot.py:170:16
	s_and_b32 s1, s1, 0xffff
	buffer_load_dword v2, v6, s[0:3], 0 offen
	buffer_load_dword v5, v7, s[0:3], 0 offen
	;; [unrolled: 1-line block ×4, first 2 shown]
                                        ; kill: killed $sgpr0_sgpr1
	.loc	1 175 31 is_stmt 1              ; group_norm_aot.py:175:31
	s_add_u32 s0, s39, s4
	s_addc_u32 s1, s40, s5
	.loc	1 165 20                        ; group_norm_aot.py:165:20
	global_load_dword v0, v10, s[12:13] offset:12
	.loc	1 175 16                        ; group_norm_aot.py:175:16
	s_and_b32 s1, s1, 0xffff
	buffer_load_dword v10, v6, s[0:3], 0 offen
	buffer_load_dword v12, v7, s[0:3], 0 offen
	;; [unrolled: 1-line block ×4, first 2 shown]
	.loc	1 181 22                        ; group_norm_aot.py:181:22
	v_mov_b32_e32 v1, v4
	.loc	1 183 30                        ; group_norm_aot.py:183:30
	s_add_u32 s0, s20, s4
	s_addc_u32 s1, s21, s5
	.loc	1 183 80 is_stmt 0              ; group_norm_aot.py:183:80
	s_and_b32 s1, s1, 0xffff
	.loc	1 180 25 is_stmt 1              ; group_norm_aot.py:180:25
	s_waitcnt vmcnt(8)
	v_subrev_f32_e32 v2, s38, v2
	s_waitcnt vmcnt(7)
	v_subrev_f32_e32 v4, s38, v5
	;; [unrolled: 2-line block ×4, first 2 shown]
	.loc	1 180 33 is_stmt 0              ; group_norm_aot.py:180:33
	v_mul_f32_e32 v11, s33, v2
	v_mul_f32_e32 v13, s33, v4
	;; [unrolled: 1-line block ×4, first 2 shown]
	.loc	1 181 22 is_stmt 1              ; group_norm_aot.py:181:22
	s_waitcnt vmcnt(3)
	v_pk_mul_f32 v[4:5], v[0:1], v[10:11]
	s_waitcnt vmcnt(2)
	v_pk_mul_f32 v[10:11], v[0:1], v[12:13]
	;; [unrolled: 2-line block ×4, first 2 shown]
	.loc	1 182 25                        ; group_norm_aot.py:182:25
	v_add_f32_e32 v2, v3, v5
	v_add_f32_e32 v5, v3, v11
	;; [unrolled: 1-line block ×4, first 2 shown]
	v_sub_f32_e32 v2, v4, v2
	v_sub_f32_e32 v3, v10, v5
	;; [unrolled: 1-line block ×4, first 2 shown]
	.loc	1 182 45 is_stmt 0              ; group_norm_aot.py:182:45
	v_mul_f32_e32 v1, s33, v2
	v_mul_f32_e32 v2, s33, v3
	;; [unrolled: 1-line block ×4, first 2 shown]
	.loc	1 183 80 is_stmt 1              ; group_norm_aot.py:183:80
	buffer_store_dword v1, v6, s[0:3], 0 offen
	buffer_store_dword v2, v7, s[0:3], 0 offen
	;; [unrolled: 1-line block ×4, first 2 shown]
.LBB0_34:                               ; %._crit_edge7
	.loc	1 163 4                         ; group_norm_aot.py:163:4
	s_endpgm
.Ltmp69:
	.section	.rodata,"a",@progbits
	.p2align	6, 0x0
	.amdhsa_kernel _group_norm_backward_kernel
		.amdhsa_group_segment_fixed_size 0
		.amdhsa_private_segment_fixed_size 0
		.amdhsa_kernarg_size 96
		.amdhsa_user_sgpr_count 16
		.amdhsa_user_sgpr_dispatch_ptr 0
		.amdhsa_user_sgpr_queue_ptr 0
		.amdhsa_user_sgpr_kernarg_segment_ptr 1
		.amdhsa_user_sgpr_dispatch_id 0
		.amdhsa_user_sgpr_kernarg_preload_length 14
		.amdhsa_user_sgpr_kernarg_preload_offset 0
		.amdhsa_user_sgpr_private_segment_size 0
		.amdhsa_uses_dynamic_stack 0
		.amdhsa_enable_private_segment 0
		.amdhsa_system_sgpr_workgroup_id_x 1
		.amdhsa_system_sgpr_workgroup_id_y 1
		.amdhsa_system_sgpr_workgroup_id_z 0
		.amdhsa_system_sgpr_workgroup_info 0
		.amdhsa_system_vgpr_workitem_id 0
		.amdhsa_next_free_vgpr 21
		.amdhsa_next_free_sgpr 44
		.amdhsa_accum_offset 24
		.amdhsa_reserve_vcc 1
		.amdhsa_reserve_xnack_mask 1
		.amdhsa_float_round_mode_32 0
		.amdhsa_float_round_mode_16_64 0
		.amdhsa_float_denorm_mode_32 3
		.amdhsa_float_denorm_mode_16_64 3
		.amdhsa_dx10_clamp 1
		.amdhsa_ieee_mode 1
		.amdhsa_fp16_overflow 0
		.amdhsa_tg_split 0
		.amdhsa_exception_fp_ieee_invalid_op 0
		.amdhsa_exception_fp_denorm_src 0
		.amdhsa_exception_fp_ieee_div_zero 0
		.amdhsa_exception_fp_ieee_overflow 0
		.amdhsa_exception_fp_ieee_underflow 0
		.amdhsa_exception_fp_ieee_inexact 0
		.amdhsa_exception_int_div_zero 0
	.end_amdhsa_kernel
	.text
.Lfunc_end0:
	.size	_group_norm_backward_kernel, .Lfunc_end0-_group_norm_backward_kernel
	.cfi_endproc
                                        ; -- End function
	.set _group_norm_backward_kernel.num_vgpr, 21
	.set _group_norm_backward_kernel.num_agpr, 0
	.set _group_norm_backward_kernel.numbered_sgpr, 44
	.set _group_norm_backward_kernel.num_named_barrier, 0
	.set _group_norm_backward_kernel.private_seg_size, 0
	.set _group_norm_backward_kernel.uses_vcc, 1
	.set _group_norm_backward_kernel.uses_flat_scratch, 0
	.set _group_norm_backward_kernel.has_dyn_sized_stack, 0
	.set _group_norm_backward_kernel.has_recursion, 0
	.set _group_norm_backward_kernel.has_indirect_call, 0
	.section	.AMDGPU.csdata,"",@progbits
; Kernel info:
; codeLenInByte = 3328
; TotalNumSgprs: 50
; NumVgprs: 21
; NumAgprs: 0
; TotalNumVgprs: 21
; ScratchSize: 0
; MemoryBound: 0
; FloatMode: 240
; IeeeMode: 1
; LDSByteSize: 0 bytes/workgroup (compile time only)
; SGPRBlocks: 6
; VGPRBlocks: 2
; NumSGPRsForWavesPerEU: 50
; NumVGPRsForWavesPerEU: 21
; AccumOffset: 24
; Occupancy: 8
; WaveLimiterHint : 0
; COMPUTE_PGM_RSRC2:SCRATCH_EN: 0
; COMPUTE_PGM_RSRC2:USER_SGPR: 16
; COMPUTE_PGM_RSRC2:TRAP_HANDLER: 0
; COMPUTE_PGM_RSRC2:TGID_X_EN: 1
; COMPUTE_PGM_RSRC2:TGID_Y_EN: 1
; COMPUTE_PGM_RSRC2:TGID_Z_EN: 0
; COMPUTE_PGM_RSRC2:TIDIG_COMP_CNT: 0
; COMPUTE_PGM_RSRC3_GFX90A:ACCUM_OFFSET: 5
; COMPUTE_PGM_RSRC3_GFX90A:TG_SPLIT: 0
	.text
	.p2alignl 6, 3212836864
	.fill 256, 4, 3212836864
	.section	.AMDGPU.gpr_maximums,"",@progbits
	.set amdgpu.max_num_vgpr, 0
	.set amdgpu.max_num_agpr, 0
	.set amdgpu.max_num_sgpr, 0
	.set amdgpu.max_num_named_barrier, 0
	.text
	.section	.debug_abbrev,"",@progbits
	.byte	1                               ; Abbreviation Code
	.byte	17                              ; DW_TAG_compile_unit
	.byte	1                               ; DW_CHILDREN_yes
	.byte	37                              ; DW_AT_producer
	.byte	14                              ; DW_FORM_strp
	.byte	19                              ; DW_AT_language
	.byte	5                               ; DW_FORM_data2
	.byte	3                               ; DW_AT_name
	.byte	14                              ; DW_FORM_strp
	.byte	16                              ; DW_AT_stmt_list
	.byte	23                              ; DW_FORM_sec_offset
	.byte	27                              ; DW_AT_comp_dir
	.byte	14                              ; DW_FORM_strp
	.byte	17                              ; DW_AT_low_pc
	.byte	1                               ; DW_FORM_addr
	.byte	18                              ; DW_AT_high_pc
	.byte	6                               ; DW_FORM_data4
	.byte	0                               ; EOM(1)
	.byte	0                               ; EOM(2)
	.byte	2                               ; Abbreviation Code
	.byte	46                              ; DW_TAG_subprogram
	.byte	0                               ; DW_CHILDREN_no
	.byte	3                               ; DW_AT_name
	.byte	14                              ; DW_FORM_strp
	.byte	32                              ; DW_AT_inline
	.byte	11                              ; DW_FORM_data1
	.byte	0                               ; EOM(1)
	.byte	0                               ; EOM(2)
	.byte	3                               ; Abbreviation Code
	.byte	46                              ; DW_TAG_subprogram
	.byte	1                               ; DW_CHILDREN_yes
	.byte	17                              ; DW_AT_low_pc
	.byte	1                               ; DW_FORM_addr
	.byte	18                              ; DW_AT_high_pc
	.byte	6                               ; DW_FORM_data4
	.byte	49                              ; DW_AT_abstract_origin
	.byte	19                              ; DW_FORM_ref4
	.byte	0                               ; EOM(1)
	.byte	0                               ; EOM(2)
	.byte	4                               ; Abbreviation Code
	.byte	29                              ; DW_TAG_inlined_subroutine
	.byte	1                               ; DW_CHILDREN_yes
	.byte	49                              ; DW_AT_abstract_origin
	.byte	19                              ; DW_FORM_ref4
	.byte	85                              ; DW_AT_ranges
	.byte	23                              ; DW_FORM_sec_offset
	.byte	88                              ; DW_AT_call_file
	.byte	11                              ; DW_FORM_data1
	.byte	89                              ; DW_AT_call_line
	.byte	11                              ; DW_FORM_data1
	.byte	87                              ; DW_AT_call_column
	.byte	11                              ; DW_FORM_data1
	.byte	0                               ; EOM(1)
	.byte	0                               ; EOM(2)
	.byte	5                               ; Abbreviation Code
	.byte	29                              ; DW_TAG_inlined_subroutine
	.byte	0                               ; DW_CHILDREN_no
	.byte	49                              ; DW_AT_abstract_origin
	.byte	19                              ; DW_FORM_ref4
	.byte	85                              ; DW_AT_ranges
	.byte	23                              ; DW_FORM_sec_offset
	.byte	88                              ; DW_AT_call_file
	.byte	11                              ; DW_FORM_data1
	.byte	89                              ; DW_AT_call_line
	.byte	5                               ; DW_FORM_data2
	.byte	87                              ; DW_AT_call_column
	.byte	11                              ; DW_FORM_data1
	.byte	0                               ; EOM(1)
	.byte	0                               ; EOM(2)
	;; [unrolled: 1-line block ×3, first 2 shown]
	.section	.debug_info,"",@progbits
.Lcu_begin0:
	.long	.Ldebug_info_end0-.Ldebug_info_start0 ; Length of Unit
.Ldebug_info_start0:
	.short	4                               ; DWARF version number
	.long	.debug_abbrev                   ; Offset Into Abbrev. Section
	.byte	8                               ; Address Size (in bytes)
	.byte	1                               ; Abbrev [1] 0xb:0xa0 DW_TAG_compile_unit
	.long	.Linfo_string0                  ; DW_AT_producer
	.short	2                               ; DW_AT_language
	.long	.Linfo_string1                  ; DW_AT_name
	.long	.Lline_table_start0             ; DW_AT_stmt_list
	.long	.Linfo_string2                  ; DW_AT_comp_dir
	.quad	.Lfunc_begin0                   ; DW_AT_low_pc
	.long	.Lfunc_end0-.Lfunc_begin0       ; DW_AT_high_pc
	.byte	2                               ; Abbrev [2] 0x2a:0x6 DW_TAG_subprogram
	.long	.Linfo_string3                  ; DW_AT_name
	.byte	1                               ; DW_AT_inline
	.byte	3                               ; Abbrev [3] 0x30:0x7a DW_TAG_subprogram
	.quad	.Lfunc_begin0                   ; DW_AT_low_pc
	.long	.Lfunc_end0-.Lfunc_begin0       ; DW_AT_high_pc
	.long	42                              ; DW_AT_abstract_origin
	.byte	4                               ; Abbrev [4] 0x41:0x1a DW_TAG_inlined_subroutine
	.long	42                              ; DW_AT_abstract_origin
	.long	.Ldebug_ranges0                 ; DW_AT_ranges
	.byte	1                               ; DW_AT_call_file
	.byte	148                             ; DW_AT_call_line
	.byte	25                              ; DW_AT_call_column
	.byte	5                               ; Abbrev [5] 0x4d:0xd DW_TAG_inlined_subroutine
	.long	42                              ; DW_AT_abstract_origin
	.long	.Ldebug_ranges1                 ; DW_AT_ranges
	.byte	2                               ; DW_AT_call_file
	.short	293                             ; DW_AT_call_line
	.byte	36                              ; DW_AT_call_column
	.byte	0                               ; End Of Children Mark
	.byte	4                               ; Abbrev [4] 0x5b:0x1a DW_TAG_inlined_subroutine
	.long	42                              ; DW_AT_abstract_origin
	.long	.Ldebug_ranges2                 ; DW_AT_ranges
	.byte	1                               ; DW_AT_call_file
	.byte	149                             ; DW_AT_call_line
	.byte	25                              ; DW_AT_call_column
	.byte	5                               ; Abbrev [5] 0x67:0xd DW_TAG_inlined_subroutine
	.long	42                              ; DW_AT_abstract_origin
	.long	.Ldebug_ranges3                 ; DW_AT_ranges
	.byte	2                               ; DW_AT_call_file
	.short	293                             ; DW_AT_call_line
	.byte	36                              ; DW_AT_call_column
	.byte	0                               ; End Of Children Mark
	;; [unrolled: 13-line block ×4, first 2 shown]
	.byte	0                               ; End Of Children Mark
	.byte	0                               ; End Of Children Mark
.Ldebug_info_end0:
	.section	.debug_ranges,"",@progbits
.Ldebug_ranges0:
	.quad	.Ltmp2-.Lfunc_begin0
	.quad	.Ltmp3-.Lfunc_begin0
	;; [unrolled: 1-line block ×14, first 2 shown]
	.quad	0
	.quad	0
.Ldebug_ranges1:
	.quad	.Ltmp4-.Lfunc_begin0
	.quad	.Ltmp5-.Lfunc_begin0
	;; [unrolled: 1-line block ×10, first 2 shown]
	.quad	0
	.quad	0
.Ldebug_ranges2:
	.quad	.Ltmp17-.Lfunc_begin0
	.quad	.Ltmp18-.Lfunc_begin0
	;; [unrolled: 1-line block ×12, first 2 shown]
	.quad	0
	.quad	0
.Ldebug_ranges3:
	.quad	.Ltmp17-.Lfunc_begin0
	.quad	.Ltmp18-.Lfunc_begin0
	;; [unrolled: 1-line block ×12, first 2 shown]
	.quad	0
	.quad	0
.Ldebug_ranges4:
	.quad	.Ltmp33-.Lfunc_begin0
	.quad	.Ltmp34-.Lfunc_begin0
	;; [unrolled: 1-line block ×16, first 2 shown]
	.quad	0
	.quad	0
.Ldebug_ranges5:
	.quad	.Ltmp33-.Lfunc_begin0
	.quad	.Ltmp34-.Lfunc_begin0
	;; [unrolled: 1-line block ×16, first 2 shown]
	.quad	0
	.quad	0
.Ldebug_ranges6:
	.quad	.Ltmp53-.Lfunc_begin0
	.quad	.Ltmp54-.Lfunc_begin0
	;; [unrolled: 1-line block ×8, first 2 shown]
	.quad	0
	.quad	0
.Ldebug_ranges7:
	.quad	.Ltmp53-.Lfunc_begin0
	.quad	.Ltmp54-.Lfunc_begin0
	;; [unrolled: 1-line block ×12, first 2 shown]
	.quad	0
	.quad	0
	.section	.debug_str,"MS",@progbits,1
.Linfo_string0:
	.asciz	"triton"                        ; string offset=0
.Linfo_string1:
	.asciz	"group_norm_aot.py"             ; string offset=7
.Linfo_string2:
	.asciz	"/root/src/amdgpu-assembly/repos/linkedin__Liger-Kernel/triton_aot_kernels" ; string offset=25
.Linfo_string3:
	.asciz	"_group_norm_backward_kernel"   ; string offset=99
	.section	".note.GNU-stack","",@progbits
	.amdgpu_metadata
---
amdhsa.kernels:
  - .agpr_count:     0
    .args:
      - .address_space:  global
        .offset:         0
        .size:           8
        .value_kind:     global_buffer
      - .offset:         8
        .size:           4
        .value_kind:     by_value
      - .offset:         12
        .size:           4
        .value_kind:     by_value
      - .address_space:  global
        .offset:         16
        .size:           8
        .value_kind:     global_buffer
      - .address_space:  global
        .offset:         24
        .size:           8
        .value_kind:     global_buffer
      - .offset:         32
        .size:           4
        .value_kind:     by_value
      - .offset:         36
        .size:           4
        .value_kind:     by_value
      - .address_space:  global
        .offset:         40
        .size:           8
        .value_kind:     global_buffer
      - .address_space:  global
        .offset:         48
        .size:           8
        .value_kind:     global_buffer
      - .address_space:  global
        .offset:         56
        .size:           8
        .value_kind:     global_buffer
      - .address_space:  global
        .offset:         64
        .size:           8
        .value_kind:     global_buffer
      - .address_space:  global
        .offset:         72
        .size:           8
        .value_kind:     global_buffer
      - .address_space:  global
        .offset:         80
        .size:           8
        .value_kind:     global_buffer
      - .address_space:  global
        .offset:         88
        .size:           8
        .value_kind:     global_buffer
    .group_segment_fixed_size: 0
    .kernarg_segment_align: 8
    .kernarg_segment_size: 96
    .max_flat_workgroup_size: 256
    .name:           _group_norm_backward_kernel
    .private_segment_fixed_size: 0
    .sgpr_count:     50
    .sgpr_spill_count: 0
    .symbol:         _group_norm_backward_kernel.kd
    .uniform_work_group_size: 1
    .uses_dynamic_stack: false
    .vgpr_count:     21
    .vgpr_spill_count: 0
    .wavefront_size: 64
amdhsa.target:   amdgcn-amd-amdhsa--gfx950
amdhsa.version:
  - 1
  - 2
...

	.end_amdgpu_metadata
	.section	.debug_line,"",@progbits
.Lline_table_start0:
